;; amdgpu-corpus repo=vllm-project/vllm kind=compiled arch=gfx90a opt=O3
	.text
	.amdgcn_target "amdgcn-amd-amdhsa--gfx90a"
	.amdhsa_code_object_version 6
	.section	.text._ZN4vllm14moe_gptq_rdna324moe_gemm_q4_kernel_rdna3I6__halfLi1EEEvPKT_PS3_PKjS5_S8_PKfPKiSC_SC_iiiiiiiibi,"axG",@progbits,_ZN4vllm14moe_gptq_rdna324moe_gemm_q4_kernel_rdna3I6__halfLi1EEEvPKT_PS3_PKjS5_S8_PKfPKiSC_SC_iiiiiiiibi,comdat
	.protected	_ZN4vllm14moe_gptq_rdna324moe_gemm_q4_kernel_rdna3I6__halfLi1EEEvPKT_PS3_PKjS5_S8_PKfPKiSC_SC_iiiiiiiibi ; -- Begin function _ZN4vllm14moe_gptq_rdna324moe_gemm_q4_kernel_rdna3I6__halfLi1EEEvPKT_PS3_PKjS5_S8_PKfPKiSC_SC_iiiiiiiibi
	.globl	_ZN4vllm14moe_gptq_rdna324moe_gemm_q4_kernel_rdna3I6__halfLi1EEEvPKT_PS3_PKjS5_S8_PKfPKiSC_SC_iiiiiiiibi
	.p2align	8
	.type	_ZN4vllm14moe_gptq_rdna324moe_gemm_q4_kernel_rdna3I6__halfLi1EEEvPKT_PS3_PKjS5_S8_PKfPKiSC_SC_iiiiiiiibi,@function
_ZN4vllm14moe_gptq_rdna324moe_gemm_q4_kernel_rdna3I6__halfLi1EEEvPKT_PS3_PKjS5_S8_PKfPKiSC_SC_iiiiiiiibi: ; @_ZN4vllm14moe_gptq_rdna324moe_gemm_q4_kernel_rdna3I6__halfLi1EEEvPKT_PS3_PKjS5_S8_PKfPKiSC_SC_iiiiiiiibi
; %bb.0:
	s_endpgm
	.section	.rodata,"a",@progbits
	.p2align	6, 0x0
	.amdhsa_kernel _ZN4vllm14moe_gptq_rdna324moe_gemm_q4_kernel_rdna3I6__halfLi1EEEvPKT_PS3_PKjS5_S8_PKfPKiSC_SC_iiiiiiiibi
		.amdhsa_group_segment_fixed_size 0
		.amdhsa_private_segment_fixed_size 0
		.amdhsa_kernarg_size 112
		.amdhsa_user_sgpr_count 6
		.amdhsa_user_sgpr_private_segment_buffer 1
		.amdhsa_user_sgpr_dispatch_ptr 0
		.amdhsa_user_sgpr_queue_ptr 0
		.amdhsa_user_sgpr_kernarg_segment_ptr 1
		.amdhsa_user_sgpr_dispatch_id 0
		.amdhsa_user_sgpr_flat_scratch_init 0
		.amdhsa_user_sgpr_kernarg_preload_length 0
		.amdhsa_user_sgpr_kernarg_preload_offset 0
		.amdhsa_user_sgpr_private_segment_size 0
		.amdhsa_uses_dynamic_stack 0
		.amdhsa_system_sgpr_private_segment_wavefront_offset 0
		.amdhsa_system_sgpr_workgroup_id_x 1
		.amdhsa_system_sgpr_workgroup_id_y 0
		.amdhsa_system_sgpr_workgroup_id_z 0
		.amdhsa_system_sgpr_workgroup_info 0
		.amdhsa_system_vgpr_workitem_id 0
		.amdhsa_next_free_vgpr 1
		.amdhsa_next_free_sgpr 0
		.amdhsa_accum_offset 4
		.amdhsa_reserve_vcc 0
		.amdhsa_reserve_flat_scratch 0
		.amdhsa_float_round_mode_32 0
		.amdhsa_float_round_mode_16_64 0
		.amdhsa_float_denorm_mode_32 3
		.amdhsa_float_denorm_mode_16_64 3
		.amdhsa_dx10_clamp 1
		.amdhsa_ieee_mode 1
		.amdhsa_fp16_overflow 0
		.amdhsa_tg_split 0
		.amdhsa_exception_fp_ieee_invalid_op 0
		.amdhsa_exception_fp_denorm_src 0
		.amdhsa_exception_fp_ieee_div_zero 0
		.amdhsa_exception_fp_ieee_overflow 0
		.amdhsa_exception_fp_ieee_underflow 0
		.amdhsa_exception_fp_ieee_inexact 0
		.amdhsa_exception_int_div_zero 0
	.end_amdhsa_kernel
	.section	.text._ZN4vllm14moe_gptq_rdna324moe_gemm_q4_kernel_rdna3I6__halfLi1EEEvPKT_PS3_PKjS5_S8_PKfPKiSC_SC_iiiiiiiibi,"axG",@progbits,_ZN4vllm14moe_gptq_rdna324moe_gemm_q4_kernel_rdna3I6__halfLi1EEEvPKT_PS3_PKjS5_S8_PKfPKiSC_SC_iiiiiiiibi,comdat
.Lfunc_end0:
	.size	_ZN4vllm14moe_gptq_rdna324moe_gemm_q4_kernel_rdna3I6__halfLi1EEEvPKT_PS3_PKjS5_S8_PKfPKiSC_SC_iiiiiiiibi, .Lfunc_end0-_ZN4vllm14moe_gptq_rdna324moe_gemm_q4_kernel_rdna3I6__halfLi1EEEvPKT_PS3_PKjS5_S8_PKfPKiSC_SC_iiiiiiiibi
                                        ; -- End function
	.section	.AMDGPU.csdata,"",@progbits
; Kernel info:
; codeLenInByte = 4
; NumSgprs: 4
; NumVgprs: 0
; NumAgprs: 0
; TotalNumVgprs: 0
; ScratchSize: 0
; MemoryBound: 0
; FloatMode: 240
; IeeeMode: 1
; LDSByteSize: 0 bytes/workgroup (compile time only)
; SGPRBlocks: 0
; VGPRBlocks: 0
; NumSGPRsForWavesPerEU: 4
; NumVGPRsForWavesPerEU: 1
; AccumOffset: 4
; Occupancy: 8
; WaveLimiterHint : 0
; COMPUTE_PGM_RSRC2:SCRATCH_EN: 0
; COMPUTE_PGM_RSRC2:USER_SGPR: 6
; COMPUTE_PGM_RSRC2:TRAP_HANDLER: 0
; COMPUTE_PGM_RSRC2:TGID_X_EN: 1
; COMPUTE_PGM_RSRC2:TGID_Y_EN: 0
; COMPUTE_PGM_RSRC2:TGID_Z_EN: 0
; COMPUTE_PGM_RSRC2:TIDIG_COMP_CNT: 0
; COMPUTE_PGM_RSRC3_GFX90A:ACCUM_OFFSET: 0
; COMPUTE_PGM_RSRC3_GFX90A:TG_SPLIT: 0
	.section	.text._ZN4vllm14moe_gptq_rdna324moe_gemm_q4_kernel_rdna3I6__halfLi2EEEvPKT_PS3_PKjS5_S8_PKfPKiSC_SC_iiiiiiiibi,"axG",@progbits,_ZN4vllm14moe_gptq_rdna324moe_gemm_q4_kernel_rdna3I6__halfLi2EEEvPKT_PS3_PKjS5_S8_PKfPKiSC_SC_iiiiiiiibi,comdat
	.protected	_ZN4vllm14moe_gptq_rdna324moe_gemm_q4_kernel_rdna3I6__halfLi2EEEvPKT_PS3_PKjS5_S8_PKfPKiSC_SC_iiiiiiiibi ; -- Begin function _ZN4vllm14moe_gptq_rdna324moe_gemm_q4_kernel_rdna3I6__halfLi2EEEvPKT_PS3_PKjS5_S8_PKfPKiSC_SC_iiiiiiiibi
	.globl	_ZN4vllm14moe_gptq_rdna324moe_gemm_q4_kernel_rdna3I6__halfLi2EEEvPKT_PS3_PKjS5_S8_PKfPKiSC_SC_iiiiiiiibi
	.p2align	8
	.type	_ZN4vllm14moe_gptq_rdna324moe_gemm_q4_kernel_rdna3I6__halfLi2EEEvPKT_PS3_PKjS5_S8_PKfPKiSC_SC_iiiiiiiibi,@function
_ZN4vllm14moe_gptq_rdna324moe_gemm_q4_kernel_rdna3I6__halfLi2EEEvPKT_PS3_PKjS5_S8_PKfPKiSC_SC_iiiiiiiibi: ; @_ZN4vllm14moe_gptq_rdna324moe_gemm_q4_kernel_rdna3I6__halfLi2EEEvPKT_PS3_PKjS5_S8_PKfPKiSC_SC_iiiiiiiibi
; %bb.0:
	s_endpgm
	.section	.rodata,"a",@progbits
	.p2align	6, 0x0
	.amdhsa_kernel _ZN4vllm14moe_gptq_rdna324moe_gemm_q4_kernel_rdna3I6__halfLi2EEEvPKT_PS3_PKjS5_S8_PKfPKiSC_SC_iiiiiiiibi
		.amdhsa_group_segment_fixed_size 0
		.amdhsa_private_segment_fixed_size 0
		.amdhsa_kernarg_size 112
		.amdhsa_user_sgpr_count 6
		.amdhsa_user_sgpr_private_segment_buffer 1
		.amdhsa_user_sgpr_dispatch_ptr 0
		.amdhsa_user_sgpr_queue_ptr 0
		.amdhsa_user_sgpr_kernarg_segment_ptr 1
		.amdhsa_user_sgpr_dispatch_id 0
		.amdhsa_user_sgpr_flat_scratch_init 0
		.amdhsa_user_sgpr_kernarg_preload_length 0
		.amdhsa_user_sgpr_kernarg_preload_offset 0
		.amdhsa_user_sgpr_private_segment_size 0
		.amdhsa_uses_dynamic_stack 0
		.amdhsa_system_sgpr_private_segment_wavefront_offset 0
		.amdhsa_system_sgpr_workgroup_id_x 1
		.amdhsa_system_sgpr_workgroup_id_y 0
		.amdhsa_system_sgpr_workgroup_id_z 0
		.amdhsa_system_sgpr_workgroup_info 0
		.amdhsa_system_vgpr_workitem_id 0
		.amdhsa_next_free_vgpr 1
		.amdhsa_next_free_sgpr 0
		.amdhsa_accum_offset 4
		.amdhsa_reserve_vcc 0
		.amdhsa_reserve_flat_scratch 0
		.amdhsa_float_round_mode_32 0
		.amdhsa_float_round_mode_16_64 0
		.amdhsa_float_denorm_mode_32 3
		.amdhsa_float_denorm_mode_16_64 3
		.amdhsa_dx10_clamp 1
		.amdhsa_ieee_mode 1
		.amdhsa_fp16_overflow 0
		.amdhsa_tg_split 0
		.amdhsa_exception_fp_ieee_invalid_op 0
		.amdhsa_exception_fp_denorm_src 0
		.amdhsa_exception_fp_ieee_div_zero 0
		.amdhsa_exception_fp_ieee_overflow 0
		.amdhsa_exception_fp_ieee_underflow 0
		.amdhsa_exception_fp_ieee_inexact 0
		.amdhsa_exception_int_div_zero 0
	.end_amdhsa_kernel
	.section	.text._ZN4vllm14moe_gptq_rdna324moe_gemm_q4_kernel_rdna3I6__halfLi2EEEvPKT_PS3_PKjS5_S8_PKfPKiSC_SC_iiiiiiiibi,"axG",@progbits,_ZN4vllm14moe_gptq_rdna324moe_gemm_q4_kernel_rdna3I6__halfLi2EEEvPKT_PS3_PKjS5_S8_PKfPKiSC_SC_iiiiiiiibi,comdat
.Lfunc_end1:
	.size	_ZN4vllm14moe_gptq_rdna324moe_gemm_q4_kernel_rdna3I6__halfLi2EEEvPKT_PS3_PKjS5_S8_PKfPKiSC_SC_iiiiiiiibi, .Lfunc_end1-_ZN4vllm14moe_gptq_rdna324moe_gemm_q4_kernel_rdna3I6__halfLi2EEEvPKT_PS3_PKjS5_S8_PKfPKiSC_SC_iiiiiiiibi
                                        ; -- End function
	.section	.AMDGPU.csdata,"",@progbits
; Kernel info:
; codeLenInByte = 4
; NumSgprs: 4
; NumVgprs: 0
; NumAgprs: 0
; TotalNumVgprs: 0
; ScratchSize: 0
; MemoryBound: 0
; FloatMode: 240
; IeeeMode: 1
; LDSByteSize: 0 bytes/workgroup (compile time only)
; SGPRBlocks: 0
; VGPRBlocks: 0
; NumSGPRsForWavesPerEU: 4
; NumVGPRsForWavesPerEU: 1
; AccumOffset: 4
; Occupancy: 8
; WaveLimiterHint : 0
; COMPUTE_PGM_RSRC2:SCRATCH_EN: 0
; COMPUTE_PGM_RSRC2:USER_SGPR: 6
; COMPUTE_PGM_RSRC2:TRAP_HANDLER: 0
; COMPUTE_PGM_RSRC2:TGID_X_EN: 1
; COMPUTE_PGM_RSRC2:TGID_Y_EN: 0
; COMPUTE_PGM_RSRC2:TGID_Z_EN: 0
; COMPUTE_PGM_RSRC2:TIDIG_COMP_CNT: 0
; COMPUTE_PGM_RSRC3_GFX90A:ACCUM_OFFSET: 0
; COMPUTE_PGM_RSRC3_GFX90A:TG_SPLIT: 0
	.section	.text._ZN4vllm14moe_gptq_rdna324moe_gemm_q4_kernel_rdna3I6__halfLi4EEEvPKT_PS3_PKjS5_S8_PKfPKiSC_SC_iiiiiiiibi,"axG",@progbits,_ZN4vllm14moe_gptq_rdna324moe_gemm_q4_kernel_rdna3I6__halfLi4EEEvPKT_PS3_PKjS5_S8_PKfPKiSC_SC_iiiiiiiibi,comdat
	.protected	_ZN4vllm14moe_gptq_rdna324moe_gemm_q4_kernel_rdna3I6__halfLi4EEEvPKT_PS3_PKjS5_S8_PKfPKiSC_SC_iiiiiiiibi ; -- Begin function _ZN4vllm14moe_gptq_rdna324moe_gemm_q4_kernel_rdna3I6__halfLi4EEEvPKT_PS3_PKjS5_S8_PKfPKiSC_SC_iiiiiiiibi
	.globl	_ZN4vllm14moe_gptq_rdna324moe_gemm_q4_kernel_rdna3I6__halfLi4EEEvPKT_PS3_PKjS5_S8_PKfPKiSC_SC_iiiiiiiibi
	.p2align	8
	.type	_ZN4vllm14moe_gptq_rdna324moe_gemm_q4_kernel_rdna3I6__halfLi4EEEvPKT_PS3_PKjS5_S8_PKfPKiSC_SC_iiiiiiiibi,@function
_ZN4vllm14moe_gptq_rdna324moe_gemm_q4_kernel_rdna3I6__halfLi4EEEvPKT_PS3_PKjS5_S8_PKfPKiSC_SC_iiiiiiiibi: ; @_ZN4vllm14moe_gptq_rdna324moe_gemm_q4_kernel_rdna3I6__halfLi4EEEvPKT_PS3_PKjS5_S8_PKfPKiSC_SC_iiiiiiiibi
; %bb.0:
	s_endpgm
	.section	.rodata,"a",@progbits
	.p2align	6, 0x0
	.amdhsa_kernel _ZN4vllm14moe_gptq_rdna324moe_gemm_q4_kernel_rdna3I6__halfLi4EEEvPKT_PS3_PKjS5_S8_PKfPKiSC_SC_iiiiiiiibi
		.amdhsa_group_segment_fixed_size 0
		.amdhsa_private_segment_fixed_size 0
		.amdhsa_kernarg_size 112
		.amdhsa_user_sgpr_count 6
		.amdhsa_user_sgpr_private_segment_buffer 1
		.amdhsa_user_sgpr_dispatch_ptr 0
		.amdhsa_user_sgpr_queue_ptr 0
		.amdhsa_user_sgpr_kernarg_segment_ptr 1
		.amdhsa_user_sgpr_dispatch_id 0
		.amdhsa_user_sgpr_flat_scratch_init 0
		.amdhsa_user_sgpr_kernarg_preload_length 0
		.amdhsa_user_sgpr_kernarg_preload_offset 0
		.amdhsa_user_sgpr_private_segment_size 0
		.amdhsa_uses_dynamic_stack 0
		.amdhsa_system_sgpr_private_segment_wavefront_offset 0
		.amdhsa_system_sgpr_workgroup_id_x 1
		.amdhsa_system_sgpr_workgroup_id_y 0
		.amdhsa_system_sgpr_workgroup_id_z 0
		.amdhsa_system_sgpr_workgroup_info 0
		.amdhsa_system_vgpr_workitem_id 0
		.amdhsa_next_free_vgpr 1
		.amdhsa_next_free_sgpr 0
		.amdhsa_accum_offset 4
		.amdhsa_reserve_vcc 0
		.amdhsa_reserve_flat_scratch 0
		.amdhsa_float_round_mode_32 0
		.amdhsa_float_round_mode_16_64 0
		.amdhsa_float_denorm_mode_32 3
		.amdhsa_float_denorm_mode_16_64 3
		.amdhsa_dx10_clamp 1
		.amdhsa_ieee_mode 1
		.amdhsa_fp16_overflow 0
		.amdhsa_tg_split 0
		.amdhsa_exception_fp_ieee_invalid_op 0
		.amdhsa_exception_fp_denorm_src 0
		.amdhsa_exception_fp_ieee_div_zero 0
		.amdhsa_exception_fp_ieee_overflow 0
		.amdhsa_exception_fp_ieee_underflow 0
		.amdhsa_exception_fp_ieee_inexact 0
		.amdhsa_exception_int_div_zero 0
	.end_amdhsa_kernel
	.section	.text._ZN4vllm14moe_gptq_rdna324moe_gemm_q4_kernel_rdna3I6__halfLi4EEEvPKT_PS3_PKjS5_S8_PKfPKiSC_SC_iiiiiiiibi,"axG",@progbits,_ZN4vllm14moe_gptq_rdna324moe_gemm_q4_kernel_rdna3I6__halfLi4EEEvPKT_PS3_PKjS5_S8_PKfPKiSC_SC_iiiiiiiibi,comdat
.Lfunc_end2:
	.size	_ZN4vllm14moe_gptq_rdna324moe_gemm_q4_kernel_rdna3I6__halfLi4EEEvPKT_PS3_PKjS5_S8_PKfPKiSC_SC_iiiiiiiibi, .Lfunc_end2-_ZN4vllm14moe_gptq_rdna324moe_gemm_q4_kernel_rdna3I6__halfLi4EEEvPKT_PS3_PKjS5_S8_PKfPKiSC_SC_iiiiiiiibi
                                        ; -- End function
	.section	.AMDGPU.csdata,"",@progbits
; Kernel info:
; codeLenInByte = 4
; NumSgprs: 4
; NumVgprs: 0
; NumAgprs: 0
; TotalNumVgprs: 0
; ScratchSize: 0
; MemoryBound: 0
; FloatMode: 240
; IeeeMode: 1
; LDSByteSize: 0 bytes/workgroup (compile time only)
; SGPRBlocks: 0
; VGPRBlocks: 0
; NumSGPRsForWavesPerEU: 4
; NumVGPRsForWavesPerEU: 1
; AccumOffset: 4
; Occupancy: 8
; WaveLimiterHint : 0
; COMPUTE_PGM_RSRC2:SCRATCH_EN: 0
; COMPUTE_PGM_RSRC2:USER_SGPR: 6
; COMPUTE_PGM_RSRC2:TRAP_HANDLER: 0
; COMPUTE_PGM_RSRC2:TGID_X_EN: 1
; COMPUTE_PGM_RSRC2:TGID_Y_EN: 0
; COMPUTE_PGM_RSRC2:TGID_Z_EN: 0
; COMPUTE_PGM_RSRC2:TIDIG_COMP_CNT: 0
; COMPUTE_PGM_RSRC3_GFX90A:ACCUM_OFFSET: 0
; COMPUTE_PGM_RSRC3_GFX90A:TG_SPLIT: 0
	.section	.text._ZN4vllm14moe_gptq_rdna324moe_gemm_q4_kernel_rdna3I6__halfLi8EEEvPKT_PS3_PKjS5_S8_PKfPKiSC_SC_iiiiiiiibi,"axG",@progbits,_ZN4vllm14moe_gptq_rdna324moe_gemm_q4_kernel_rdna3I6__halfLi8EEEvPKT_PS3_PKjS5_S8_PKfPKiSC_SC_iiiiiiiibi,comdat
	.protected	_ZN4vllm14moe_gptq_rdna324moe_gemm_q4_kernel_rdna3I6__halfLi8EEEvPKT_PS3_PKjS5_S8_PKfPKiSC_SC_iiiiiiiibi ; -- Begin function _ZN4vllm14moe_gptq_rdna324moe_gemm_q4_kernel_rdna3I6__halfLi8EEEvPKT_PS3_PKjS5_S8_PKfPKiSC_SC_iiiiiiiibi
	.globl	_ZN4vllm14moe_gptq_rdna324moe_gemm_q4_kernel_rdna3I6__halfLi8EEEvPKT_PS3_PKjS5_S8_PKfPKiSC_SC_iiiiiiiibi
	.p2align	8
	.type	_ZN4vllm14moe_gptq_rdna324moe_gemm_q4_kernel_rdna3I6__halfLi8EEEvPKT_PS3_PKjS5_S8_PKfPKiSC_SC_iiiiiiiibi,@function
_ZN4vllm14moe_gptq_rdna324moe_gemm_q4_kernel_rdna3I6__halfLi8EEEvPKT_PS3_PKjS5_S8_PKfPKiSC_SC_iiiiiiiibi: ; @_ZN4vllm14moe_gptq_rdna324moe_gemm_q4_kernel_rdna3I6__halfLi8EEEvPKT_PS3_PKjS5_S8_PKfPKiSC_SC_iiiiiiiibi
; %bb.0:
	s_endpgm
	.section	.rodata,"a",@progbits
	.p2align	6, 0x0
	.amdhsa_kernel _ZN4vllm14moe_gptq_rdna324moe_gemm_q4_kernel_rdna3I6__halfLi8EEEvPKT_PS3_PKjS5_S8_PKfPKiSC_SC_iiiiiiiibi
		.amdhsa_group_segment_fixed_size 0
		.amdhsa_private_segment_fixed_size 0
		.amdhsa_kernarg_size 112
		.amdhsa_user_sgpr_count 6
		.amdhsa_user_sgpr_private_segment_buffer 1
		.amdhsa_user_sgpr_dispatch_ptr 0
		.amdhsa_user_sgpr_queue_ptr 0
		.amdhsa_user_sgpr_kernarg_segment_ptr 1
		.amdhsa_user_sgpr_dispatch_id 0
		.amdhsa_user_sgpr_flat_scratch_init 0
		.amdhsa_user_sgpr_kernarg_preload_length 0
		.amdhsa_user_sgpr_kernarg_preload_offset 0
		.amdhsa_user_sgpr_private_segment_size 0
		.amdhsa_uses_dynamic_stack 0
		.amdhsa_system_sgpr_private_segment_wavefront_offset 0
		.amdhsa_system_sgpr_workgroup_id_x 1
		.amdhsa_system_sgpr_workgroup_id_y 0
		.amdhsa_system_sgpr_workgroup_id_z 0
		.amdhsa_system_sgpr_workgroup_info 0
		.amdhsa_system_vgpr_workitem_id 0
		.amdhsa_next_free_vgpr 1
		.amdhsa_next_free_sgpr 0
		.amdhsa_accum_offset 4
		.amdhsa_reserve_vcc 0
		.amdhsa_reserve_flat_scratch 0
		.amdhsa_float_round_mode_32 0
		.amdhsa_float_round_mode_16_64 0
		.amdhsa_float_denorm_mode_32 3
		.amdhsa_float_denorm_mode_16_64 3
		.amdhsa_dx10_clamp 1
		.amdhsa_ieee_mode 1
		.amdhsa_fp16_overflow 0
		.amdhsa_tg_split 0
		.amdhsa_exception_fp_ieee_invalid_op 0
		.amdhsa_exception_fp_denorm_src 0
		.amdhsa_exception_fp_ieee_div_zero 0
		.amdhsa_exception_fp_ieee_overflow 0
		.amdhsa_exception_fp_ieee_underflow 0
		.amdhsa_exception_fp_ieee_inexact 0
		.amdhsa_exception_int_div_zero 0
	.end_amdhsa_kernel
	.section	.text._ZN4vllm14moe_gptq_rdna324moe_gemm_q4_kernel_rdna3I6__halfLi8EEEvPKT_PS3_PKjS5_S8_PKfPKiSC_SC_iiiiiiiibi,"axG",@progbits,_ZN4vllm14moe_gptq_rdna324moe_gemm_q4_kernel_rdna3I6__halfLi8EEEvPKT_PS3_PKjS5_S8_PKfPKiSC_SC_iiiiiiiibi,comdat
.Lfunc_end3:
	.size	_ZN4vllm14moe_gptq_rdna324moe_gemm_q4_kernel_rdna3I6__halfLi8EEEvPKT_PS3_PKjS5_S8_PKfPKiSC_SC_iiiiiiiibi, .Lfunc_end3-_ZN4vllm14moe_gptq_rdna324moe_gemm_q4_kernel_rdna3I6__halfLi8EEEvPKT_PS3_PKjS5_S8_PKfPKiSC_SC_iiiiiiiibi
                                        ; -- End function
	.section	.AMDGPU.csdata,"",@progbits
; Kernel info:
; codeLenInByte = 4
; NumSgprs: 4
; NumVgprs: 0
; NumAgprs: 0
; TotalNumVgprs: 0
; ScratchSize: 0
; MemoryBound: 0
; FloatMode: 240
; IeeeMode: 1
; LDSByteSize: 0 bytes/workgroup (compile time only)
; SGPRBlocks: 0
; VGPRBlocks: 0
; NumSGPRsForWavesPerEU: 4
; NumVGPRsForWavesPerEU: 1
; AccumOffset: 4
; Occupancy: 8
; WaveLimiterHint : 0
; COMPUTE_PGM_RSRC2:SCRATCH_EN: 0
; COMPUTE_PGM_RSRC2:USER_SGPR: 6
; COMPUTE_PGM_RSRC2:TRAP_HANDLER: 0
; COMPUTE_PGM_RSRC2:TGID_X_EN: 1
; COMPUTE_PGM_RSRC2:TGID_Y_EN: 0
; COMPUTE_PGM_RSRC2:TGID_Z_EN: 0
; COMPUTE_PGM_RSRC2:TIDIG_COMP_CNT: 0
; COMPUTE_PGM_RSRC3_GFX90A:ACCUM_OFFSET: 0
; COMPUTE_PGM_RSRC3_GFX90A:TG_SPLIT: 0
	.section	.text._ZN4vllm14moe_gptq_rdna324moe_gemm_q4_kernel_rdna3I14__hip_bfloat16Li1EEEvPKT_PS3_PKjS5_S8_PKfPKiSC_SC_iiiiiiiibi,"axG",@progbits,_ZN4vllm14moe_gptq_rdna324moe_gemm_q4_kernel_rdna3I14__hip_bfloat16Li1EEEvPKT_PS3_PKjS5_S8_PKfPKiSC_SC_iiiiiiiibi,comdat
	.protected	_ZN4vllm14moe_gptq_rdna324moe_gemm_q4_kernel_rdna3I14__hip_bfloat16Li1EEEvPKT_PS3_PKjS5_S8_PKfPKiSC_SC_iiiiiiiibi ; -- Begin function _ZN4vllm14moe_gptq_rdna324moe_gemm_q4_kernel_rdna3I14__hip_bfloat16Li1EEEvPKT_PS3_PKjS5_S8_PKfPKiSC_SC_iiiiiiiibi
	.globl	_ZN4vllm14moe_gptq_rdna324moe_gemm_q4_kernel_rdna3I14__hip_bfloat16Li1EEEvPKT_PS3_PKjS5_S8_PKfPKiSC_SC_iiiiiiiibi
	.p2align	8
	.type	_ZN4vllm14moe_gptq_rdna324moe_gemm_q4_kernel_rdna3I14__hip_bfloat16Li1EEEvPKT_PS3_PKjS5_S8_PKfPKiSC_SC_iiiiiiiibi,@function
_ZN4vllm14moe_gptq_rdna324moe_gemm_q4_kernel_rdna3I14__hip_bfloat16Li1EEEvPKT_PS3_PKjS5_S8_PKfPKiSC_SC_iiiiiiiibi: ; @_ZN4vllm14moe_gptq_rdna324moe_gemm_q4_kernel_rdna3I14__hip_bfloat16Li1EEEvPKT_PS3_PKjS5_S8_PKfPKiSC_SC_iiiiiiiibi
; %bb.0:
	s_endpgm
	.section	.rodata,"a",@progbits
	.p2align	6, 0x0
	.amdhsa_kernel _ZN4vllm14moe_gptq_rdna324moe_gemm_q4_kernel_rdna3I14__hip_bfloat16Li1EEEvPKT_PS3_PKjS5_S8_PKfPKiSC_SC_iiiiiiiibi
		.amdhsa_group_segment_fixed_size 0
		.amdhsa_private_segment_fixed_size 0
		.amdhsa_kernarg_size 112
		.amdhsa_user_sgpr_count 6
		.amdhsa_user_sgpr_private_segment_buffer 1
		.amdhsa_user_sgpr_dispatch_ptr 0
		.amdhsa_user_sgpr_queue_ptr 0
		.amdhsa_user_sgpr_kernarg_segment_ptr 1
		.amdhsa_user_sgpr_dispatch_id 0
		.amdhsa_user_sgpr_flat_scratch_init 0
		.amdhsa_user_sgpr_kernarg_preload_length 0
		.amdhsa_user_sgpr_kernarg_preload_offset 0
		.amdhsa_user_sgpr_private_segment_size 0
		.amdhsa_uses_dynamic_stack 0
		.amdhsa_system_sgpr_private_segment_wavefront_offset 0
		.amdhsa_system_sgpr_workgroup_id_x 1
		.amdhsa_system_sgpr_workgroup_id_y 0
		.amdhsa_system_sgpr_workgroup_id_z 0
		.amdhsa_system_sgpr_workgroup_info 0
		.amdhsa_system_vgpr_workitem_id 0
		.amdhsa_next_free_vgpr 1
		.amdhsa_next_free_sgpr 0
		.amdhsa_accum_offset 4
		.amdhsa_reserve_vcc 0
		.amdhsa_reserve_flat_scratch 0
		.amdhsa_float_round_mode_32 0
		.amdhsa_float_round_mode_16_64 0
		.amdhsa_float_denorm_mode_32 3
		.amdhsa_float_denorm_mode_16_64 3
		.amdhsa_dx10_clamp 1
		.amdhsa_ieee_mode 1
		.amdhsa_fp16_overflow 0
		.amdhsa_tg_split 0
		.amdhsa_exception_fp_ieee_invalid_op 0
		.amdhsa_exception_fp_denorm_src 0
		.amdhsa_exception_fp_ieee_div_zero 0
		.amdhsa_exception_fp_ieee_overflow 0
		.amdhsa_exception_fp_ieee_underflow 0
		.amdhsa_exception_fp_ieee_inexact 0
		.amdhsa_exception_int_div_zero 0
	.end_amdhsa_kernel
	.section	.text._ZN4vllm14moe_gptq_rdna324moe_gemm_q4_kernel_rdna3I14__hip_bfloat16Li1EEEvPKT_PS3_PKjS5_S8_PKfPKiSC_SC_iiiiiiiibi,"axG",@progbits,_ZN4vllm14moe_gptq_rdna324moe_gemm_q4_kernel_rdna3I14__hip_bfloat16Li1EEEvPKT_PS3_PKjS5_S8_PKfPKiSC_SC_iiiiiiiibi,comdat
.Lfunc_end4:
	.size	_ZN4vllm14moe_gptq_rdna324moe_gemm_q4_kernel_rdna3I14__hip_bfloat16Li1EEEvPKT_PS3_PKjS5_S8_PKfPKiSC_SC_iiiiiiiibi, .Lfunc_end4-_ZN4vllm14moe_gptq_rdna324moe_gemm_q4_kernel_rdna3I14__hip_bfloat16Li1EEEvPKT_PS3_PKjS5_S8_PKfPKiSC_SC_iiiiiiiibi
                                        ; -- End function
	.section	.AMDGPU.csdata,"",@progbits
; Kernel info:
; codeLenInByte = 4
; NumSgprs: 4
; NumVgprs: 0
; NumAgprs: 0
; TotalNumVgprs: 0
; ScratchSize: 0
; MemoryBound: 0
; FloatMode: 240
; IeeeMode: 1
; LDSByteSize: 0 bytes/workgroup (compile time only)
; SGPRBlocks: 0
; VGPRBlocks: 0
; NumSGPRsForWavesPerEU: 4
; NumVGPRsForWavesPerEU: 1
; AccumOffset: 4
; Occupancy: 8
; WaveLimiterHint : 0
; COMPUTE_PGM_RSRC2:SCRATCH_EN: 0
; COMPUTE_PGM_RSRC2:USER_SGPR: 6
; COMPUTE_PGM_RSRC2:TRAP_HANDLER: 0
; COMPUTE_PGM_RSRC2:TGID_X_EN: 1
; COMPUTE_PGM_RSRC2:TGID_Y_EN: 0
; COMPUTE_PGM_RSRC2:TGID_Z_EN: 0
; COMPUTE_PGM_RSRC2:TIDIG_COMP_CNT: 0
; COMPUTE_PGM_RSRC3_GFX90A:ACCUM_OFFSET: 0
; COMPUTE_PGM_RSRC3_GFX90A:TG_SPLIT: 0
	.section	.text._ZN4vllm14moe_gptq_rdna324moe_gemm_q4_kernel_rdna3I14__hip_bfloat16Li2EEEvPKT_PS3_PKjS5_S8_PKfPKiSC_SC_iiiiiiiibi,"axG",@progbits,_ZN4vllm14moe_gptq_rdna324moe_gemm_q4_kernel_rdna3I14__hip_bfloat16Li2EEEvPKT_PS3_PKjS5_S8_PKfPKiSC_SC_iiiiiiiibi,comdat
	.protected	_ZN4vllm14moe_gptq_rdna324moe_gemm_q4_kernel_rdna3I14__hip_bfloat16Li2EEEvPKT_PS3_PKjS5_S8_PKfPKiSC_SC_iiiiiiiibi ; -- Begin function _ZN4vllm14moe_gptq_rdna324moe_gemm_q4_kernel_rdna3I14__hip_bfloat16Li2EEEvPKT_PS3_PKjS5_S8_PKfPKiSC_SC_iiiiiiiibi
	.globl	_ZN4vllm14moe_gptq_rdna324moe_gemm_q4_kernel_rdna3I14__hip_bfloat16Li2EEEvPKT_PS3_PKjS5_S8_PKfPKiSC_SC_iiiiiiiibi
	.p2align	8
	.type	_ZN4vllm14moe_gptq_rdna324moe_gemm_q4_kernel_rdna3I14__hip_bfloat16Li2EEEvPKT_PS3_PKjS5_S8_PKfPKiSC_SC_iiiiiiiibi,@function
_ZN4vllm14moe_gptq_rdna324moe_gemm_q4_kernel_rdna3I14__hip_bfloat16Li2EEEvPKT_PS3_PKjS5_S8_PKfPKiSC_SC_iiiiiiiibi: ; @_ZN4vllm14moe_gptq_rdna324moe_gemm_q4_kernel_rdna3I14__hip_bfloat16Li2EEEvPKT_PS3_PKjS5_S8_PKfPKiSC_SC_iiiiiiiibi
; %bb.0:
	s_endpgm
	.section	.rodata,"a",@progbits
	.p2align	6, 0x0
	.amdhsa_kernel _ZN4vllm14moe_gptq_rdna324moe_gemm_q4_kernel_rdna3I14__hip_bfloat16Li2EEEvPKT_PS3_PKjS5_S8_PKfPKiSC_SC_iiiiiiiibi
		.amdhsa_group_segment_fixed_size 0
		.amdhsa_private_segment_fixed_size 0
		.amdhsa_kernarg_size 112
		.amdhsa_user_sgpr_count 6
		.amdhsa_user_sgpr_private_segment_buffer 1
		.amdhsa_user_sgpr_dispatch_ptr 0
		.amdhsa_user_sgpr_queue_ptr 0
		.amdhsa_user_sgpr_kernarg_segment_ptr 1
		.amdhsa_user_sgpr_dispatch_id 0
		.amdhsa_user_sgpr_flat_scratch_init 0
		.amdhsa_user_sgpr_kernarg_preload_length 0
		.amdhsa_user_sgpr_kernarg_preload_offset 0
		.amdhsa_user_sgpr_private_segment_size 0
		.amdhsa_uses_dynamic_stack 0
		.amdhsa_system_sgpr_private_segment_wavefront_offset 0
		.amdhsa_system_sgpr_workgroup_id_x 1
		.amdhsa_system_sgpr_workgroup_id_y 0
		.amdhsa_system_sgpr_workgroup_id_z 0
		.amdhsa_system_sgpr_workgroup_info 0
		.amdhsa_system_vgpr_workitem_id 0
		.amdhsa_next_free_vgpr 1
		.amdhsa_next_free_sgpr 0
		.amdhsa_accum_offset 4
		.amdhsa_reserve_vcc 0
		.amdhsa_reserve_flat_scratch 0
		.amdhsa_float_round_mode_32 0
		.amdhsa_float_round_mode_16_64 0
		.amdhsa_float_denorm_mode_32 3
		.amdhsa_float_denorm_mode_16_64 3
		.amdhsa_dx10_clamp 1
		.amdhsa_ieee_mode 1
		.amdhsa_fp16_overflow 0
		.amdhsa_tg_split 0
		.amdhsa_exception_fp_ieee_invalid_op 0
		.amdhsa_exception_fp_denorm_src 0
		.amdhsa_exception_fp_ieee_div_zero 0
		.amdhsa_exception_fp_ieee_overflow 0
		.amdhsa_exception_fp_ieee_underflow 0
		.amdhsa_exception_fp_ieee_inexact 0
		.amdhsa_exception_int_div_zero 0
	.end_amdhsa_kernel
	.section	.text._ZN4vllm14moe_gptq_rdna324moe_gemm_q4_kernel_rdna3I14__hip_bfloat16Li2EEEvPKT_PS3_PKjS5_S8_PKfPKiSC_SC_iiiiiiiibi,"axG",@progbits,_ZN4vllm14moe_gptq_rdna324moe_gemm_q4_kernel_rdna3I14__hip_bfloat16Li2EEEvPKT_PS3_PKjS5_S8_PKfPKiSC_SC_iiiiiiiibi,comdat
.Lfunc_end5:
	.size	_ZN4vllm14moe_gptq_rdna324moe_gemm_q4_kernel_rdna3I14__hip_bfloat16Li2EEEvPKT_PS3_PKjS5_S8_PKfPKiSC_SC_iiiiiiiibi, .Lfunc_end5-_ZN4vllm14moe_gptq_rdna324moe_gemm_q4_kernel_rdna3I14__hip_bfloat16Li2EEEvPKT_PS3_PKjS5_S8_PKfPKiSC_SC_iiiiiiiibi
                                        ; -- End function
	.section	.AMDGPU.csdata,"",@progbits
; Kernel info:
; codeLenInByte = 4
; NumSgprs: 4
; NumVgprs: 0
; NumAgprs: 0
; TotalNumVgprs: 0
; ScratchSize: 0
; MemoryBound: 0
; FloatMode: 240
; IeeeMode: 1
; LDSByteSize: 0 bytes/workgroup (compile time only)
; SGPRBlocks: 0
; VGPRBlocks: 0
; NumSGPRsForWavesPerEU: 4
; NumVGPRsForWavesPerEU: 1
; AccumOffset: 4
; Occupancy: 8
; WaveLimiterHint : 0
; COMPUTE_PGM_RSRC2:SCRATCH_EN: 0
; COMPUTE_PGM_RSRC2:USER_SGPR: 6
; COMPUTE_PGM_RSRC2:TRAP_HANDLER: 0
; COMPUTE_PGM_RSRC2:TGID_X_EN: 1
; COMPUTE_PGM_RSRC2:TGID_Y_EN: 0
; COMPUTE_PGM_RSRC2:TGID_Z_EN: 0
; COMPUTE_PGM_RSRC2:TIDIG_COMP_CNT: 0
; COMPUTE_PGM_RSRC3_GFX90A:ACCUM_OFFSET: 0
; COMPUTE_PGM_RSRC3_GFX90A:TG_SPLIT: 0
	.section	.text._ZN4vllm14moe_gptq_rdna324moe_gemm_q4_kernel_rdna3I14__hip_bfloat16Li4EEEvPKT_PS3_PKjS5_S8_PKfPKiSC_SC_iiiiiiiibi,"axG",@progbits,_ZN4vllm14moe_gptq_rdna324moe_gemm_q4_kernel_rdna3I14__hip_bfloat16Li4EEEvPKT_PS3_PKjS5_S8_PKfPKiSC_SC_iiiiiiiibi,comdat
	.protected	_ZN4vllm14moe_gptq_rdna324moe_gemm_q4_kernel_rdna3I14__hip_bfloat16Li4EEEvPKT_PS3_PKjS5_S8_PKfPKiSC_SC_iiiiiiiibi ; -- Begin function _ZN4vllm14moe_gptq_rdna324moe_gemm_q4_kernel_rdna3I14__hip_bfloat16Li4EEEvPKT_PS3_PKjS5_S8_PKfPKiSC_SC_iiiiiiiibi
	.globl	_ZN4vllm14moe_gptq_rdna324moe_gemm_q4_kernel_rdna3I14__hip_bfloat16Li4EEEvPKT_PS3_PKjS5_S8_PKfPKiSC_SC_iiiiiiiibi
	.p2align	8
	.type	_ZN4vllm14moe_gptq_rdna324moe_gemm_q4_kernel_rdna3I14__hip_bfloat16Li4EEEvPKT_PS3_PKjS5_S8_PKfPKiSC_SC_iiiiiiiibi,@function
_ZN4vllm14moe_gptq_rdna324moe_gemm_q4_kernel_rdna3I14__hip_bfloat16Li4EEEvPKT_PS3_PKjS5_S8_PKfPKiSC_SC_iiiiiiiibi: ; @_ZN4vllm14moe_gptq_rdna324moe_gemm_q4_kernel_rdna3I14__hip_bfloat16Li4EEEvPKT_PS3_PKjS5_S8_PKfPKiSC_SC_iiiiiiiibi
; %bb.0:
	s_endpgm
	.section	.rodata,"a",@progbits
	.p2align	6, 0x0
	.amdhsa_kernel _ZN4vllm14moe_gptq_rdna324moe_gemm_q4_kernel_rdna3I14__hip_bfloat16Li4EEEvPKT_PS3_PKjS5_S8_PKfPKiSC_SC_iiiiiiiibi
		.amdhsa_group_segment_fixed_size 0
		.amdhsa_private_segment_fixed_size 0
		.amdhsa_kernarg_size 112
		.amdhsa_user_sgpr_count 6
		.amdhsa_user_sgpr_private_segment_buffer 1
		.amdhsa_user_sgpr_dispatch_ptr 0
		.amdhsa_user_sgpr_queue_ptr 0
		.amdhsa_user_sgpr_kernarg_segment_ptr 1
		.amdhsa_user_sgpr_dispatch_id 0
		.amdhsa_user_sgpr_flat_scratch_init 0
		.amdhsa_user_sgpr_kernarg_preload_length 0
		.amdhsa_user_sgpr_kernarg_preload_offset 0
		.amdhsa_user_sgpr_private_segment_size 0
		.amdhsa_uses_dynamic_stack 0
		.amdhsa_system_sgpr_private_segment_wavefront_offset 0
		.amdhsa_system_sgpr_workgroup_id_x 1
		.amdhsa_system_sgpr_workgroup_id_y 0
		.amdhsa_system_sgpr_workgroup_id_z 0
		.amdhsa_system_sgpr_workgroup_info 0
		.amdhsa_system_vgpr_workitem_id 0
		.amdhsa_next_free_vgpr 1
		.amdhsa_next_free_sgpr 0
		.amdhsa_accum_offset 4
		.amdhsa_reserve_vcc 0
		.amdhsa_reserve_flat_scratch 0
		.amdhsa_float_round_mode_32 0
		.amdhsa_float_round_mode_16_64 0
		.amdhsa_float_denorm_mode_32 3
		.amdhsa_float_denorm_mode_16_64 3
		.amdhsa_dx10_clamp 1
		.amdhsa_ieee_mode 1
		.amdhsa_fp16_overflow 0
		.amdhsa_tg_split 0
		.amdhsa_exception_fp_ieee_invalid_op 0
		.amdhsa_exception_fp_denorm_src 0
		.amdhsa_exception_fp_ieee_div_zero 0
		.amdhsa_exception_fp_ieee_overflow 0
		.amdhsa_exception_fp_ieee_underflow 0
		.amdhsa_exception_fp_ieee_inexact 0
		.amdhsa_exception_int_div_zero 0
	.end_amdhsa_kernel
	.section	.text._ZN4vllm14moe_gptq_rdna324moe_gemm_q4_kernel_rdna3I14__hip_bfloat16Li4EEEvPKT_PS3_PKjS5_S8_PKfPKiSC_SC_iiiiiiiibi,"axG",@progbits,_ZN4vllm14moe_gptq_rdna324moe_gemm_q4_kernel_rdna3I14__hip_bfloat16Li4EEEvPKT_PS3_PKjS5_S8_PKfPKiSC_SC_iiiiiiiibi,comdat
.Lfunc_end6:
	.size	_ZN4vllm14moe_gptq_rdna324moe_gemm_q4_kernel_rdna3I14__hip_bfloat16Li4EEEvPKT_PS3_PKjS5_S8_PKfPKiSC_SC_iiiiiiiibi, .Lfunc_end6-_ZN4vllm14moe_gptq_rdna324moe_gemm_q4_kernel_rdna3I14__hip_bfloat16Li4EEEvPKT_PS3_PKjS5_S8_PKfPKiSC_SC_iiiiiiiibi
                                        ; -- End function
	.section	.AMDGPU.csdata,"",@progbits
; Kernel info:
; codeLenInByte = 4
; NumSgprs: 4
; NumVgprs: 0
; NumAgprs: 0
; TotalNumVgprs: 0
; ScratchSize: 0
; MemoryBound: 0
; FloatMode: 240
; IeeeMode: 1
; LDSByteSize: 0 bytes/workgroup (compile time only)
; SGPRBlocks: 0
; VGPRBlocks: 0
; NumSGPRsForWavesPerEU: 4
; NumVGPRsForWavesPerEU: 1
; AccumOffset: 4
; Occupancy: 8
; WaveLimiterHint : 0
; COMPUTE_PGM_RSRC2:SCRATCH_EN: 0
; COMPUTE_PGM_RSRC2:USER_SGPR: 6
; COMPUTE_PGM_RSRC2:TRAP_HANDLER: 0
; COMPUTE_PGM_RSRC2:TGID_X_EN: 1
; COMPUTE_PGM_RSRC2:TGID_Y_EN: 0
; COMPUTE_PGM_RSRC2:TGID_Z_EN: 0
; COMPUTE_PGM_RSRC2:TIDIG_COMP_CNT: 0
; COMPUTE_PGM_RSRC3_GFX90A:ACCUM_OFFSET: 0
; COMPUTE_PGM_RSRC3_GFX90A:TG_SPLIT: 0
	.section	.text._ZN4vllm14moe_gptq_rdna324moe_gemm_q4_kernel_rdna3I14__hip_bfloat16Li8EEEvPKT_PS3_PKjS5_S8_PKfPKiSC_SC_iiiiiiiibi,"axG",@progbits,_ZN4vllm14moe_gptq_rdna324moe_gemm_q4_kernel_rdna3I14__hip_bfloat16Li8EEEvPKT_PS3_PKjS5_S8_PKfPKiSC_SC_iiiiiiiibi,comdat
	.protected	_ZN4vllm14moe_gptq_rdna324moe_gemm_q4_kernel_rdna3I14__hip_bfloat16Li8EEEvPKT_PS3_PKjS5_S8_PKfPKiSC_SC_iiiiiiiibi ; -- Begin function _ZN4vllm14moe_gptq_rdna324moe_gemm_q4_kernel_rdna3I14__hip_bfloat16Li8EEEvPKT_PS3_PKjS5_S8_PKfPKiSC_SC_iiiiiiiibi
	.globl	_ZN4vllm14moe_gptq_rdna324moe_gemm_q4_kernel_rdna3I14__hip_bfloat16Li8EEEvPKT_PS3_PKjS5_S8_PKfPKiSC_SC_iiiiiiiibi
	.p2align	8
	.type	_ZN4vllm14moe_gptq_rdna324moe_gemm_q4_kernel_rdna3I14__hip_bfloat16Li8EEEvPKT_PS3_PKjS5_S8_PKfPKiSC_SC_iiiiiiiibi,@function
_ZN4vllm14moe_gptq_rdna324moe_gemm_q4_kernel_rdna3I14__hip_bfloat16Li8EEEvPKT_PS3_PKjS5_S8_PKfPKiSC_SC_iiiiiiiibi: ; @_ZN4vllm14moe_gptq_rdna324moe_gemm_q4_kernel_rdna3I14__hip_bfloat16Li8EEEvPKT_PS3_PKjS5_S8_PKfPKiSC_SC_iiiiiiiibi
; %bb.0:
	s_endpgm
	.section	.rodata,"a",@progbits
	.p2align	6, 0x0
	.amdhsa_kernel _ZN4vllm14moe_gptq_rdna324moe_gemm_q4_kernel_rdna3I14__hip_bfloat16Li8EEEvPKT_PS3_PKjS5_S8_PKfPKiSC_SC_iiiiiiiibi
		.amdhsa_group_segment_fixed_size 0
		.amdhsa_private_segment_fixed_size 0
		.amdhsa_kernarg_size 112
		.amdhsa_user_sgpr_count 6
		.amdhsa_user_sgpr_private_segment_buffer 1
		.amdhsa_user_sgpr_dispatch_ptr 0
		.amdhsa_user_sgpr_queue_ptr 0
		.amdhsa_user_sgpr_kernarg_segment_ptr 1
		.amdhsa_user_sgpr_dispatch_id 0
		.amdhsa_user_sgpr_flat_scratch_init 0
		.amdhsa_user_sgpr_kernarg_preload_length 0
		.amdhsa_user_sgpr_kernarg_preload_offset 0
		.amdhsa_user_sgpr_private_segment_size 0
		.amdhsa_uses_dynamic_stack 0
		.amdhsa_system_sgpr_private_segment_wavefront_offset 0
		.amdhsa_system_sgpr_workgroup_id_x 1
		.amdhsa_system_sgpr_workgroup_id_y 0
		.amdhsa_system_sgpr_workgroup_id_z 0
		.amdhsa_system_sgpr_workgroup_info 0
		.amdhsa_system_vgpr_workitem_id 0
		.amdhsa_next_free_vgpr 1
		.amdhsa_next_free_sgpr 0
		.amdhsa_accum_offset 4
		.amdhsa_reserve_vcc 0
		.amdhsa_reserve_flat_scratch 0
		.amdhsa_float_round_mode_32 0
		.amdhsa_float_round_mode_16_64 0
		.amdhsa_float_denorm_mode_32 3
		.amdhsa_float_denorm_mode_16_64 3
		.amdhsa_dx10_clamp 1
		.amdhsa_ieee_mode 1
		.amdhsa_fp16_overflow 0
		.amdhsa_tg_split 0
		.amdhsa_exception_fp_ieee_invalid_op 0
		.amdhsa_exception_fp_denorm_src 0
		.amdhsa_exception_fp_ieee_div_zero 0
		.amdhsa_exception_fp_ieee_overflow 0
		.amdhsa_exception_fp_ieee_underflow 0
		.amdhsa_exception_fp_ieee_inexact 0
		.amdhsa_exception_int_div_zero 0
	.end_amdhsa_kernel
	.section	.text._ZN4vllm14moe_gptq_rdna324moe_gemm_q4_kernel_rdna3I14__hip_bfloat16Li8EEEvPKT_PS3_PKjS5_S8_PKfPKiSC_SC_iiiiiiiibi,"axG",@progbits,_ZN4vllm14moe_gptq_rdna324moe_gemm_q4_kernel_rdna3I14__hip_bfloat16Li8EEEvPKT_PS3_PKjS5_S8_PKfPKiSC_SC_iiiiiiiibi,comdat
.Lfunc_end7:
	.size	_ZN4vllm14moe_gptq_rdna324moe_gemm_q4_kernel_rdna3I14__hip_bfloat16Li8EEEvPKT_PS3_PKjS5_S8_PKfPKiSC_SC_iiiiiiiibi, .Lfunc_end7-_ZN4vllm14moe_gptq_rdna324moe_gemm_q4_kernel_rdna3I14__hip_bfloat16Li8EEEvPKT_PS3_PKjS5_S8_PKfPKiSC_SC_iiiiiiiibi
                                        ; -- End function
	.section	.AMDGPU.csdata,"",@progbits
; Kernel info:
; codeLenInByte = 4
; NumSgprs: 4
; NumVgprs: 0
; NumAgprs: 0
; TotalNumVgprs: 0
; ScratchSize: 0
; MemoryBound: 0
; FloatMode: 240
; IeeeMode: 1
; LDSByteSize: 0 bytes/workgroup (compile time only)
; SGPRBlocks: 0
; VGPRBlocks: 0
; NumSGPRsForWavesPerEU: 4
; NumVGPRsForWavesPerEU: 1
; AccumOffset: 4
; Occupancy: 8
; WaveLimiterHint : 0
; COMPUTE_PGM_RSRC2:SCRATCH_EN: 0
; COMPUTE_PGM_RSRC2:USER_SGPR: 6
; COMPUTE_PGM_RSRC2:TRAP_HANDLER: 0
; COMPUTE_PGM_RSRC2:TGID_X_EN: 1
; COMPUTE_PGM_RSRC2:TGID_Y_EN: 0
; COMPUTE_PGM_RSRC2:TGID_Z_EN: 0
; COMPUTE_PGM_RSRC2:TIDIG_COMP_CNT: 0
; COMPUTE_PGM_RSRC3_GFX90A:ACCUM_OFFSET: 0
; COMPUTE_PGM_RSRC3_GFX90A:TG_SPLIT: 0
	.text
	.p2alignl 6, 3212836864
	.fill 256, 4, 3212836864
	.type	__hip_cuid_3a26bcc05974e44d,@object ; @__hip_cuid_3a26bcc05974e44d
	.section	.bss,"aw",@nobits
	.globl	__hip_cuid_3a26bcc05974e44d
__hip_cuid_3a26bcc05974e44d:
	.byte	0                               ; 0x0
	.size	__hip_cuid_3a26bcc05974e44d, 1

	.ident	"AMD clang version 19.0.0git (https://github.com/RadeonOpenCompute/llvm-project roc-6.4.0 25133 c7fe45cf4b819c5991fe208aaa96edf142730f1d)"
	.section	".note.GNU-stack","",@progbits
	.addrsig
	.addrsig_sym __hip_cuid_3a26bcc05974e44d
	.amdgpu_metadata
---
amdhsa.kernels:
  - .agpr_count:     0
    .args:
      - .address_space:  global
        .offset:         0
        .size:           8
        .value_kind:     global_buffer
      - .address_space:  global
        .offset:         8
        .size:           8
        .value_kind:     global_buffer
      - .address_space:  global
        .offset:         16
        .size:           8
        .value_kind:     global_buffer
      - .address_space:  global
        .offset:         24
        .size:           8
        .value_kind:     global_buffer
      - .address_space:  global
        .offset:         32
        .size:           8
        .value_kind:     global_buffer
      - .address_space:  global
        .offset:         40
        .size:           8
        .value_kind:     global_buffer
      - .address_space:  global
        .offset:         48
        .size:           8
        .value_kind:     global_buffer
      - .address_space:  global
        .offset:         56
        .size:           8
        .value_kind:     global_buffer
      - .address_space:  global
        .offset:         64
        .size:           8
        .value_kind:     global_buffer
      - .offset:         72
        .size:           4
        .value_kind:     by_value
      - .offset:         76
        .size:           4
        .value_kind:     by_value
      - .offset:         80
        .size:           4
        .value_kind:     by_value
      - .offset:         84
        .size:           4
        .value_kind:     by_value
      - .offset:         88
        .size:           4
        .value_kind:     by_value
      - .offset:         92
        .size:           4
        .value_kind:     by_value
      - .offset:         96
        .size:           4
        .value_kind:     by_value
      - .offset:         100
        .size:           4
        .value_kind:     by_value
      - .offset:         104
        .size:           1
        .value_kind:     by_value
      - .offset:         108
        .size:           4
        .value_kind:     by_value
    .group_segment_fixed_size: 0
    .kernarg_segment_align: 8
    .kernarg_segment_size: 112
    .language:       OpenCL C
    .language_version:
      - 2
      - 0
    .max_flat_workgroup_size: 1024
    .name:           _ZN4vllm14moe_gptq_rdna324moe_gemm_q4_kernel_rdna3I6__halfLi1EEEvPKT_PS3_PKjS5_S8_PKfPKiSC_SC_iiiiiiiibi
    .private_segment_fixed_size: 0
    .sgpr_count:     4
    .sgpr_spill_count: 0
    .symbol:         _ZN4vllm14moe_gptq_rdna324moe_gemm_q4_kernel_rdna3I6__halfLi1EEEvPKT_PS3_PKjS5_S8_PKfPKiSC_SC_iiiiiiiibi.kd
    .uniform_work_group_size: 1
    .uses_dynamic_stack: false
    .vgpr_count:     0
    .vgpr_spill_count: 0
    .wavefront_size: 64
  - .agpr_count:     0
    .args:
      - .address_space:  global
        .offset:         0
        .size:           8
        .value_kind:     global_buffer
      - .address_space:  global
        .offset:         8
        .size:           8
        .value_kind:     global_buffer
      - .address_space:  global
        .offset:         16
        .size:           8
        .value_kind:     global_buffer
      - .address_space:  global
        .offset:         24
        .size:           8
        .value_kind:     global_buffer
      - .address_space:  global
        .offset:         32
        .size:           8
        .value_kind:     global_buffer
      - .address_space:  global
        .offset:         40
        .size:           8
        .value_kind:     global_buffer
      - .address_space:  global
        .offset:         48
        .size:           8
        .value_kind:     global_buffer
      - .address_space:  global
        .offset:         56
        .size:           8
        .value_kind:     global_buffer
      - .address_space:  global
        .offset:         64
        .size:           8
        .value_kind:     global_buffer
      - .offset:         72
        .size:           4
        .value_kind:     by_value
      - .offset:         76
        .size:           4
        .value_kind:     by_value
      - .offset:         80
        .size:           4
        .value_kind:     by_value
      - .offset:         84
        .size:           4
        .value_kind:     by_value
      - .offset:         88
        .size:           4
        .value_kind:     by_value
      - .offset:         92
        .size:           4
        .value_kind:     by_value
      - .offset:         96
        .size:           4
        .value_kind:     by_value
      - .offset:         100
        .size:           4
        .value_kind:     by_value
      - .offset:         104
        .size:           1
        .value_kind:     by_value
      - .offset:         108
        .size:           4
        .value_kind:     by_value
    .group_segment_fixed_size: 0
    .kernarg_segment_align: 8
    .kernarg_segment_size: 112
    .language:       OpenCL C
    .language_version:
      - 2
      - 0
    .max_flat_workgroup_size: 1024
    .name:           _ZN4vllm14moe_gptq_rdna324moe_gemm_q4_kernel_rdna3I6__halfLi2EEEvPKT_PS3_PKjS5_S8_PKfPKiSC_SC_iiiiiiiibi
    .private_segment_fixed_size: 0
    .sgpr_count:     4
    .sgpr_spill_count: 0
    .symbol:         _ZN4vllm14moe_gptq_rdna324moe_gemm_q4_kernel_rdna3I6__halfLi2EEEvPKT_PS3_PKjS5_S8_PKfPKiSC_SC_iiiiiiiibi.kd
    .uniform_work_group_size: 1
    .uses_dynamic_stack: false
    .vgpr_count:     0
    .vgpr_spill_count: 0
    .wavefront_size: 64
  - .agpr_count:     0
    .args:
      - .address_space:  global
        .offset:         0
        .size:           8
        .value_kind:     global_buffer
      - .address_space:  global
        .offset:         8
        .size:           8
        .value_kind:     global_buffer
      - .address_space:  global
        .offset:         16
        .size:           8
        .value_kind:     global_buffer
      - .address_space:  global
        .offset:         24
        .size:           8
        .value_kind:     global_buffer
      - .address_space:  global
        .offset:         32
        .size:           8
        .value_kind:     global_buffer
      - .address_space:  global
        .offset:         40
        .size:           8
        .value_kind:     global_buffer
      - .address_space:  global
        .offset:         48
        .size:           8
        .value_kind:     global_buffer
      - .address_space:  global
        .offset:         56
        .size:           8
        .value_kind:     global_buffer
      - .address_space:  global
        .offset:         64
        .size:           8
        .value_kind:     global_buffer
      - .offset:         72
        .size:           4
        .value_kind:     by_value
      - .offset:         76
        .size:           4
        .value_kind:     by_value
      - .offset:         80
        .size:           4
        .value_kind:     by_value
      - .offset:         84
        .size:           4
        .value_kind:     by_value
      - .offset:         88
        .size:           4
        .value_kind:     by_value
      - .offset:         92
        .size:           4
        .value_kind:     by_value
      - .offset:         96
        .size:           4
        .value_kind:     by_value
      - .offset:         100
        .size:           4
        .value_kind:     by_value
      - .offset:         104
        .size:           1
        .value_kind:     by_value
      - .offset:         108
        .size:           4
        .value_kind:     by_value
    .group_segment_fixed_size: 0
    .kernarg_segment_align: 8
    .kernarg_segment_size: 112
    .language:       OpenCL C
    .language_version:
      - 2
      - 0
    .max_flat_workgroup_size: 1024
    .name:           _ZN4vllm14moe_gptq_rdna324moe_gemm_q4_kernel_rdna3I6__halfLi4EEEvPKT_PS3_PKjS5_S8_PKfPKiSC_SC_iiiiiiiibi
    .private_segment_fixed_size: 0
    .sgpr_count:     4
    .sgpr_spill_count: 0
    .symbol:         _ZN4vllm14moe_gptq_rdna324moe_gemm_q4_kernel_rdna3I6__halfLi4EEEvPKT_PS3_PKjS5_S8_PKfPKiSC_SC_iiiiiiiibi.kd
    .uniform_work_group_size: 1
    .uses_dynamic_stack: false
    .vgpr_count:     0
    .vgpr_spill_count: 0
    .wavefront_size: 64
  - .agpr_count:     0
    .args:
      - .address_space:  global
        .offset:         0
        .size:           8
        .value_kind:     global_buffer
      - .address_space:  global
        .offset:         8
        .size:           8
        .value_kind:     global_buffer
      - .address_space:  global
        .offset:         16
        .size:           8
        .value_kind:     global_buffer
      - .address_space:  global
        .offset:         24
        .size:           8
        .value_kind:     global_buffer
      - .address_space:  global
        .offset:         32
        .size:           8
        .value_kind:     global_buffer
      - .address_space:  global
        .offset:         40
        .size:           8
        .value_kind:     global_buffer
      - .address_space:  global
        .offset:         48
        .size:           8
        .value_kind:     global_buffer
      - .address_space:  global
        .offset:         56
        .size:           8
        .value_kind:     global_buffer
      - .address_space:  global
        .offset:         64
        .size:           8
        .value_kind:     global_buffer
      - .offset:         72
        .size:           4
        .value_kind:     by_value
      - .offset:         76
        .size:           4
        .value_kind:     by_value
      - .offset:         80
        .size:           4
        .value_kind:     by_value
      - .offset:         84
        .size:           4
        .value_kind:     by_value
      - .offset:         88
        .size:           4
        .value_kind:     by_value
      - .offset:         92
        .size:           4
        .value_kind:     by_value
      - .offset:         96
        .size:           4
        .value_kind:     by_value
      - .offset:         100
        .size:           4
        .value_kind:     by_value
      - .offset:         104
        .size:           1
        .value_kind:     by_value
      - .offset:         108
        .size:           4
        .value_kind:     by_value
    .group_segment_fixed_size: 0
    .kernarg_segment_align: 8
    .kernarg_segment_size: 112
    .language:       OpenCL C
    .language_version:
      - 2
      - 0
    .max_flat_workgroup_size: 1024
    .name:           _ZN4vllm14moe_gptq_rdna324moe_gemm_q4_kernel_rdna3I6__halfLi8EEEvPKT_PS3_PKjS5_S8_PKfPKiSC_SC_iiiiiiiibi
    .private_segment_fixed_size: 0
    .sgpr_count:     4
    .sgpr_spill_count: 0
    .symbol:         _ZN4vllm14moe_gptq_rdna324moe_gemm_q4_kernel_rdna3I6__halfLi8EEEvPKT_PS3_PKjS5_S8_PKfPKiSC_SC_iiiiiiiibi.kd
    .uniform_work_group_size: 1
    .uses_dynamic_stack: false
    .vgpr_count:     0
    .vgpr_spill_count: 0
    .wavefront_size: 64
  - .agpr_count:     0
    .args:
      - .address_space:  global
        .offset:         0
        .size:           8
        .value_kind:     global_buffer
      - .address_space:  global
        .offset:         8
        .size:           8
        .value_kind:     global_buffer
      - .address_space:  global
        .offset:         16
        .size:           8
        .value_kind:     global_buffer
      - .address_space:  global
        .offset:         24
        .size:           8
        .value_kind:     global_buffer
      - .address_space:  global
        .offset:         32
        .size:           8
        .value_kind:     global_buffer
      - .address_space:  global
        .offset:         40
        .size:           8
        .value_kind:     global_buffer
      - .address_space:  global
        .offset:         48
        .size:           8
        .value_kind:     global_buffer
      - .address_space:  global
        .offset:         56
        .size:           8
        .value_kind:     global_buffer
      - .address_space:  global
        .offset:         64
        .size:           8
        .value_kind:     global_buffer
      - .offset:         72
        .size:           4
        .value_kind:     by_value
      - .offset:         76
        .size:           4
        .value_kind:     by_value
      - .offset:         80
        .size:           4
        .value_kind:     by_value
      - .offset:         84
        .size:           4
        .value_kind:     by_value
      - .offset:         88
        .size:           4
        .value_kind:     by_value
      - .offset:         92
        .size:           4
        .value_kind:     by_value
      - .offset:         96
        .size:           4
        .value_kind:     by_value
      - .offset:         100
        .size:           4
        .value_kind:     by_value
      - .offset:         104
        .size:           1
        .value_kind:     by_value
      - .offset:         108
        .size:           4
        .value_kind:     by_value
    .group_segment_fixed_size: 0
    .kernarg_segment_align: 8
    .kernarg_segment_size: 112
    .language:       OpenCL C
    .language_version:
      - 2
      - 0
    .max_flat_workgroup_size: 1024
    .name:           _ZN4vllm14moe_gptq_rdna324moe_gemm_q4_kernel_rdna3I14__hip_bfloat16Li1EEEvPKT_PS3_PKjS5_S8_PKfPKiSC_SC_iiiiiiiibi
    .private_segment_fixed_size: 0
    .sgpr_count:     4
    .sgpr_spill_count: 0
    .symbol:         _ZN4vllm14moe_gptq_rdna324moe_gemm_q4_kernel_rdna3I14__hip_bfloat16Li1EEEvPKT_PS3_PKjS5_S8_PKfPKiSC_SC_iiiiiiiibi.kd
    .uniform_work_group_size: 1
    .uses_dynamic_stack: false
    .vgpr_count:     0
    .vgpr_spill_count: 0
    .wavefront_size: 64
  - .agpr_count:     0
    .args:
      - .address_space:  global
        .offset:         0
        .size:           8
        .value_kind:     global_buffer
      - .address_space:  global
        .offset:         8
        .size:           8
        .value_kind:     global_buffer
      - .address_space:  global
        .offset:         16
        .size:           8
        .value_kind:     global_buffer
      - .address_space:  global
        .offset:         24
        .size:           8
        .value_kind:     global_buffer
      - .address_space:  global
        .offset:         32
        .size:           8
        .value_kind:     global_buffer
      - .address_space:  global
        .offset:         40
        .size:           8
        .value_kind:     global_buffer
      - .address_space:  global
        .offset:         48
        .size:           8
        .value_kind:     global_buffer
      - .address_space:  global
        .offset:         56
        .size:           8
        .value_kind:     global_buffer
      - .address_space:  global
        .offset:         64
        .size:           8
        .value_kind:     global_buffer
      - .offset:         72
        .size:           4
        .value_kind:     by_value
      - .offset:         76
        .size:           4
        .value_kind:     by_value
      - .offset:         80
        .size:           4
        .value_kind:     by_value
      - .offset:         84
        .size:           4
        .value_kind:     by_value
      - .offset:         88
        .size:           4
        .value_kind:     by_value
      - .offset:         92
        .size:           4
        .value_kind:     by_value
      - .offset:         96
        .size:           4
        .value_kind:     by_value
      - .offset:         100
        .size:           4
        .value_kind:     by_value
      - .offset:         104
        .size:           1
        .value_kind:     by_value
      - .offset:         108
        .size:           4
        .value_kind:     by_value
    .group_segment_fixed_size: 0
    .kernarg_segment_align: 8
    .kernarg_segment_size: 112
    .language:       OpenCL C
    .language_version:
      - 2
      - 0
    .max_flat_workgroup_size: 1024
    .name:           _ZN4vllm14moe_gptq_rdna324moe_gemm_q4_kernel_rdna3I14__hip_bfloat16Li2EEEvPKT_PS3_PKjS5_S8_PKfPKiSC_SC_iiiiiiiibi
    .private_segment_fixed_size: 0
    .sgpr_count:     4
    .sgpr_spill_count: 0
    .symbol:         _ZN4vllm14moe_gptq_rdna324moe_gemm_q4_kernel_rdna3I14__hip_bfloat16Li2EEEvPKT_PS3_PKjS5_S8_PKfPKiSC_SC_iiiiiiiibi.kd
    .uniform_work_group_size: 1
    .uses_dynamic_stack: false
    .vgpr_count:     0
    .vgpr_spill_count: 0
    .wavefront_size: 64
  - .agpr_count:     0
    .args:
      - .address_space:  global
        .offset:         0
        .size:           8
        .value_kind:     global_buffer
      - .address_space:  global
        .offset:         8
        .size:           8
        .value_kind:     global_buffer
      - .address_space:  global
        .offset:         16
        .size:           8
        .value_kind:     global_buffer
      - .address_space:  global
        .offset:         24
        .size:           8
        .value_kind:     global_buffer
      - .address_space:  global
        .offset:         32
        .size:           8
        .value_kind:     global_buffer
      - .address_space:  global
        .offset:         40
        .size:           8
        .value_kind:     global_buffer
      - .address_space:  global
        .offset:         48
        .size:           8
        .value_kind:     global_buffer
      - .address_space:  global
        .offset:         56
        .size:           8
        .value_kind:     global_buffer
      - .address_space:  global
        .offset:         64
        .size:           8
        .value_kind:     global_buffer
      - .offset:         72
        .size:           4
        .value_kind:     by_value
      - .offset:         76
        .size:           4
        .value_kind:     by_value
      - .offset:         80
        .size:           4
        .value_kind:     by_value
      - .offset:         84
        .size:           4
        .value_kind:     by_value
      - .offset:         88
        .size:           4
        .value_kind:     by_value
      - .offset:         92
        .size:           4
        .value_kind:     by_value
      - .offset:         96
        .size:           4
        .value_kind:     by_value
      - .offset:         100
        .size:           4
        .value_kind:     by_value
      - .offset:         104
        .size:           1
        .value_kind:     by_value
      - .offset:         108
        .size:           4
        .value_kind:     by_value
    .group_segment_fixed_size: 0
    .kernarg_segment_align: 8
    .kernarg_segment_size: 112
    .language:       OpenCL C
    .language_version:
      - 2
      - 0
    .max_flat_workgroup_size: 1024
    .name:           _ZN4vllm14moe_gptq_rdna324moe_gemm_q4_kernel_rdna3I14__hip_bfloat16Li4EEEvPKT_PS3_PKjS5_S8_PKfPKiSC_SC_iiiiiiiibi
    .private_segment_fixed_size: 0
    .sgpr_count:     4
    .sgpr_spill_count: 0
    .symbol:         _ZN4vllm14moe_gptq_rdna324moe_gemm_q4_kernel_rdna3I14__hip_bfloat16Li4EEEvPKT_PS3_PKjS5_S8_PKfPKiSC_SC_iiiiiiiibi.kd
    .uniform_work_group_size: 1
    .uses_dynamic_stack: false
    .vgpr_count:     0
    .vgpr_spill_count: 0
    .wavefront_size: 64
  - .agpr_count:     0
    .args:
      - .address_space:  global
        .offset:         0
        .size:           8
        .value_kind:     global_buffer
      - .address_space:  global
        .offset:         8
        .size:           8
        .value_kind:     global_buffer
      - .address_space:  global
        .offset:         16
        .size:           8
        .value_kind:     global_buffer
      - .address_space:  global
        .offset:         24
        .size:           8
        .value_kind:     global_buffer
      - .address_space:  global
        .offset:         32
        .size:           8
        .value_kind:     global_buffer
      - .address_space:  global
        .offset:         40
        .size:           8
        .value_kind:     global_buffer
      - .address_space:  global
        .offset:         48
        .size:           8
        .value_kind:     global_buffer
      - .address_space:  global
        .offset:         56
        .size:           8
        .value_kind:     global_buffer
      - .address_space:  global
        .offset:         64
        .size:           8
        .value_kind:     global_buffer
      - .offset:         72
        .size:           4
        .value_kind:     by_value
      - .offset:         76
        .size:           4
        .value_kind:     by_value
      - .offset:         80
        .size:           4
        .value_kind:     by_value
      - .offset:         84
        .size:           4
        .value_kind:     by_value
      - .offset:         88
        .size:           4
        .value_kind:     by_value
      - .offset:         92
        .size:           4
        .value_kind:     by_value
      - .offset:         96
        .size:           4
        .value_kind:     by_value
      - .offset:         100
        .size:           4
        .value_kind:     by_value
      - .offset:         104
        .size:           1
        .value_kind:     by_value
      - .offset:         108
        .size:           4
        .value_kind:     by_value
    .group_segment_fixed_size: 0
    .kernarg_segment_align: 8
    .kernarg_segment_size: 112
    .language:       OpenCL C
    .language_version:
      - 2
      - 0
    .max_flat_workgroup_size: 1024
    .name:           _ZN4vllm14moe_gptq_rdna324moe_gemm_q4_kernel_rdna3I14__hip_bfloat16Li8EEEvPKT_PS3_PKjS5_S8_PKfPKiSC_SC_iiiiiiiibi
    .private_segment_fixed_size: 0
    .sgpr_count:     4
    .sgpr_spill_count: 0
    .symbol:         _ZN4vllm14moe_gptq_rdna324moe_gemm_q4_kernel_rdna3I14__hip_bfloat16Li8EEEvPKT_PS3_PKjS5_S8_PKfPKiSC_SC_iiiiiiiibi.kd
    .uniform_work_group_size: 1
    .uses_dynamic_stack: false
    .vgpr_count:     0
    .vgpr_spill_count: 0
    .wavefront_size: 64
amdhsa.target:   amdgcn-amd-amdhsa--gfx90a
amdhsa.version:
  - 1
  - 2
...

	.end_amdgpu_metadata
